;; amdgpu-corpus repo=ROCm/aiter kind=harvested arch=n/a opt=n/a

/root/src/amdgpu-assembly/repos/ROCm__aiter/hsa/gfx942/fmha_v3_bwd/bwd_hd192_odo_bf16.co:	file format elf64-amdgpu

Disassembly of section .text:

0000000000002400 <_ZN5aiter23fmha_bwd_hd192_odo_bf16E>:
	s_and_b32 s1, s1, 0xffff                                   // 000000002400: 8601FF01 0000FFFF
	s_load_dwordx2 s[12:13], s[0:1], 0x0                       // 000000002408: C0060300 00000000
	s_load_dwordx2 s[20:21], s[0:1], 0x10                      // 000000002410: C0060500 00000010
	s_load_dwordx2 s[16:17], s[0:1], 0x20                      // 000000002418: C0060400 00000020
	s_load_dword s6, s[0:1], 0x30                              // 000000002420: C0020180 00000030
	s_load_dword s8, s[0:1], 0x50                              // 000000002428: C0020200 00000050
	s_load_dword s50, s[0:1], 0x60                             // 000000002430: C0020C80 00000060
	s_load_dword s52, s[0:1], 0x80                             // 000000002438: C0020D00 00000080
	s_load_dword s9, s[0:1], 0x90                              // 000000002440: C0020240 00000090
	s_load_dword s11, s[0:1], 0xb0                             // 000000002448: C00202C0 000000B0
	s_load_dword s37, s[0:1], 0xd0                             // 000000002450: C0020940 000000D0
	s_load_dword s7, s[0:1], 0x40                              // 000000002458: C00201C0 00000040
	s_load_dword s51, s[0:1], 0x70                             // 000000002460: C0020CC0 00000070
	s_load_dword s10, s[0:1], 0xa0                             // 000000002468: C0020280 000000A0
	s_load_dword s39, s[0:1], 0xc0                             // 000000002470: C00209C0 000000C0
	v_lshrrev_b32_e32 v1, 10, v0                               // 000000002478: 2002008A
	v_lshrrev_b32_e32 v2, 10, v1                               // 00000000247C: 2004028A
	v_and_b32_e32 v2, 0x3ff, v2                                // 000000002480: 260404FF 000003FF
	v_and_b32_e32 v1, 0x3ff, v1                                // 000000002488: 260202FF 000003FF
	v_and_b32_e32 v0, 0x3ff, v0                                // 000000002490: 260000FF 000003FF
	v_lshrrev_b32_e32 v3, 6, v0                                // 000000002498: 20060086
	v_and_b32_e32 v0, 63, v0                                   // 00000000249C: 260000BF
	s_mov_b32 s2, s2                                           // 0000000024A0: BE820002
	s_mov_b32 s3, s3                                           // 0000000024A4: BE830003
	s_mov_b32 s4, s4                                           // 0000000024A8: BE840004
	v_readfirstlane_b32 s30, v3                                // 0000000024AC: 7E3C0503
	s_waitcnt lgkmcnt(0)                                       // 0000000024B0: BF8CC07F
	s_mov_b32 s15, 0x20000                                     // 0000000024B4: BE8F00FF 00020000
	s_mov_b32 s19, 0x20000                                     // 0000000024BC: BE9300FF 00020000
	s_mov_b32 s23, 0x20000                                     // 0000000024C4: BE9700FF 00020000
	s_and_b32 s13, s13, 0xffff                                 // 0000000024CC: 860DFF0D 0000FFFF
	s_and_b32 s17, s17, 0xffff                                 // 0000000024D4: 8611FF11 0000FFFF
	s_and_b32 s21, s21, 0xffff                                 // 0000000024DC: 8615FF15 0000FFFF
	s_or_b32 s13, s13, 0x40000                                 // 0000000024E4: 870DFF0D 00040000
	s_or_b32 s17, s17, 0x40000                                 // 0000000024EC: 8711FF11 00040000
	s_or_b32 s21, s21, 0x40000                                 // 0000000024F4: 8715FF15 00040000
	v_mov_b32_e32 v47, 0                                       // 0000000024FC: 7E5E0280
	s_mov_b32 s24, s12                                         // 000000002500: BE98000C
	s_mov_b32 s25, s13                                         // 000000002504: BE99000D
	s_mov_b32 s26, s16                                         // 000000002508: BE9A0010
	s_mov_b32 s27, s17                                         // 00000000250C: BE9B0011
	s_mov_b32 s28, s20                                         // 000000002510: BE9C0014
	s_mov_b32 s29, s21                                         // 000000002514: BE9D0015
	s_mul_i32 s31, s8, 0x80                                    // 000000002518: 921FFF08 00000080
	s_mul_i32 s31, s2, s31                                     // 000000002520: 921F1F02
	s_mul_i32 s32, s3, s6                                      // 000000002524: 92200603
	s_mul_i32 s33, s4, s7                                      // 000000002528: 92210704
	s_add_u32 s34, s31, s32                                    // 00000000252C: 8022201F
	s_add_u32 s34, s34, s33                                    // 000000002530: 80222122
	s_mul_i32 s32, s39, s8                                     // 000000002534: 92200827
	s_sub_i32 s32, s32, s31                                    // 000000002538: 81A01F20
	s_mov_b32 s14, s32                                         // 00000000253C: BE8E0020
	s_add_u32 s12, s34, s24                                    // 000000002540: 800C1822
	s_addc_u32 s13, 0, s25                                     // 000000002544: 820D1980
	s_mul_i32 s31, s52, 0x80                                   // 000000002548: 921FFF34 00000080
	s_mul_i32 s31, s2, s31                                     // 000000002550: 921F1F02
	s_mul_i32 s32, s3, s50                                     // 000000002554: 92203203
	s_mul_i32 s33, s4, s51                                     // 000000002558: 92213304
	s_add_u32 s53, s31, s32                                    // 00000000255C: 8035201F
	s_add_u32 s53, s53, s33                                    // 000000002560: 80352135
	s_mul_i32 s32, s39, s52                                    // 000000002564: 92203427
	s_sub_i32 s32, s32, s31                                    // 000000002568: 81A01F20
	s_mov_b32 s22, s32                                         // 00000000256C: BE960020
	s_add_u32 s20, s53, s28                                    // 000000002570: 80141C35
	s_addc_u32 s21, 0, s29                                     // 000000002574: 82151D80
	s_mul_i32 s31, s11, 0x80                                   // 000000002578: 921FFF0B 00000080
	s_mul_i32 s31, s2, s31                                     // 000000002580: 921F1F02
	s_mul_i32 s32, s3, s9                                      // 000000002584: 92200903
	s_mul_i32 s33, s4, s10                                     // 000000002588: 92210A04
	s_add_u32 s35, s31, s32                                    // 00000000258C: 8023201F
	s_add_u32 s35, s35, s33                                    // 000000002590: 80232123
	s_mul_i32 s32, s39, s11                                    // 000000002594: 92200B27
	s_sub_i32 s32, s32, s31                                    // 000000002598: 81A01F20
	s_mov_b32 s18, s32                                         // 00000000259C: BE920020
	s_add_u32 s16, s35, s26                                    // 0000000025A0: 80101A23
	s_addc_u32 s17, 0, s27                                     // 0000000025A4: 82111B80
	v_readfirstlane_b32 s30, v3                                // 0000000025A8: 7E3C0503
	v_lshrrev_b32_e32 v36, 3, v0                               // 0000000025AC: 20480083
	v_mul_i32_i24_e32 v36, s8, v36                             // 0000000025B0: 0C484808
	v_and_b32_e32 v37, 7, v0                                   // 0000000025B4: 264A0087
	v_mul_i32_i24_e32 v37, 16, v37                             // 0000000025B8: 0C4A4A90
	v_add_u32_e32 v37, v36, v37                                // 0000000025BC: 684A4B24
	v_mov_b32_e32 v4, v37                                      // 0000000025C0: 7E080325
	s_mul_i32 s31, 32, s8                                      // 0000000025C4: 921F08A0
	s_mul_i32 s31, s30, s31                                    // 0000000025C8: 921F1F1E
	v_add_u32_e32 v4, s31, v4                                  // 0000000025CC: 6808081F
	v_lshrrev_b32_e32 v36, 3, v0                               // 0000000025D0: 20480083
	v_mul_i32_i24_e32 v36, s52, v36                            // 0000000025D4: 0C484834
	v_and_b32_e32 v37, 7, v0                                   // 0000000025D8: 264A0087
	v_mul_i32_i24_e32 v37, 16, v37                             // 0000000025DC: 0C4A4A90
	v_add_u32_e32 v37, v36, v37                                // 0000000025E0: 684A4B24
	v_mov_b32_e32 v45, v37                                     // 0000000025E4: 7E5A0325
	s_mul_i32 s31, 32, s52                                     // 0000000025E8: 921F34A0
	s_mul_i32 s31, s30, s31                                    // 0000000025EC: 921F1F1E
	v_add_u32_e32 v45, s31, v45                                // 0000000025F0: 685A5A1F
	v_lshrrev_b32_e32 v5, 3, v0                                // 0000000025F4: 200A0083
	v_mul_i32_i24_e32 v5, s11, v5                              // 0000000025F8: 0C0A0A0B
	v_and_b32_e32 v36, 7, v0                                   // 0000000025FC: 26480087
	v_lshrrev_b32_e32 v36, 1, v36                              // 000000002600: 20484881
	v_lshlrev_b32_e32 v36, 5, v36                              // 000000002604: 24484885
	v_add_u32_e32 v5, v5, v36                                  // 000000002608: 680A4905
	s_mul_i32 s31, 32, s11                                     // 00000000260C: 921F0BA0
	s_mul_i32 s31, s30, s31                                    // 000000002610: 921F1F1E
	v_add_u32_e32 v5, s31, v5                                  // 000000002614: 680A0A1F
	v_and_b32_e32 v36, 7, v0                                   // 000000002618: 26480087
	v_lshlrev_b32_e32 v36, 3, v36                              // 00000000261C: 24484883
	s_sub_i32 s31, s37, 0x80                                   // 000000002620: 819FFF25 00000080
	v_cmp_lt_u32_e64 s[36:37], v36, s31                        // 000000002628: D0C90024 00003F24
	v_and_b32_e32 v36, 1, v0                                   // 000000002630: 26480081
	v_cmp_eq_u32_e64 s[38:39], v36, 0                          // 000000002634: D0CA0026 00010124
	v_lshlrev_b32_e32 v32, 2, v0                               // 00000000263C: 24400082
	s_lshl_b32 s31, s30, 8                                     // 000000002640: 8E1F881E
	v_add_u32_e32 v32, s31, v32                                // 000000002644: 6840401F
	v_lshrrev_b32_e32 v34, 3, v0                               // 000000002648: 20440083
	v_mul_i32_i24_e32 v34, 32, v34                             // 00000000264C: 0C4444A0
	v_add_u32_e32 v34, s31, v34                                // 000000002650: 6844441F
	v_add_u32_e32 v35, 16, v34                                 // 000000002654: 68464490
	v_mov_b32_e32 v30, 0                                       // 000000002658: 7E3C0280
	s_mul_i32 s31, s8, 0                                       // 00000000265C: 921F8008
	s_lshl_b32 s31, s31, 3                                     // 000000002660: 8E1F831F
	v_add_u32_e32 v31, s31, v4                                 // 000000002664: 683E081F
	s_mul_i32 s31, s52, 0                                      // 000000002668: 921F8034
	s_lshl_b32 s31, s31, 3                                     // 00000000266C: 8E1F831F
	v_add_u32_e32 v46, s31, v45                                // 000000002670: 685C5A1F
	v_and_b32_e32 v44, 7, v0                                   // 000000002674: 26580087
	v_cmp_eq_u32_e64 s[48:49], v44, 0                          // 000000002678: D0CA0030 0001012C
	buffer_load_dwordx4 v[18:21], v46, s[20:23], 0 offen       // 000000002680: E05C1000 8005122E
	buffer_load_dwordx4 v[6:9], v31, s[12:15], 0 offen         // 000000002688: E05C1000 8003061F
	v_add_u32_e32 v31, 0x80, v31                               // 000000002690: 683E3EFF 00000080
	v_add_u32_e32 v46, 0x80, v46                               // 000000002698: 685C5CFF 00000080
	s_waitcnt vmcnt(0) expcnt(0) lgkmcnt(0)                    // 0000000026A0: BF8C0000
	s_barrier                                                  // 0000000026A4: BF8A0000
	buffer_load_dwordx4 v[22:25], v46, s[20:23], 0 offen       // 0000000026A8: E05C1000 8005162E
	buffer_load_dwordx4 v[10:13], v31, s[12:15], 0 offen       // 0000000026B0: E05C1000 80030A1F
	v_add_u32_e32 v31, 0x80, v31                               // 0000000026B8: 683E3EFF 00000080
	v_add_u32_e32 v46, 0x80, v46                               // 0000000026C0: 685C5CFF 00000080
	v_mov_b32_e32 v40, 0                                       // 0000000026C8: 7E500280
	v_and_b32_e32 v36, 0xffff, v6                              // 0000000026CC: 26480CFF 0000FFFF
	v_lshrrev_b32_e32 v37, 16, v6                              // 0000000026D4: 204A0C90
	v_and_b32_e32 v38, 0xffff, v18                             // 0000000026D8: 264C24FF 0000FFFF
	v_lshrrev_b32_e32 v39, 16, v18                             // 0000000026E0: 204E2490
	v_lshlrev_b32_e32 v36, 16, v36                             // 0000000026E4: 24484890
	v_lshlrev_b32_e32 v38, 16, v38                             // 0000000026E8: 244C4C90
	v_lshlrev_b32_e32 v37, 16, v37                             // 0000000026EC: 244A4A90
	v_lshlrev_b32_e32 v39, 16, v39                             // 0000000026F0: 244E4E90
	v_fma_f32 v40, v36, v38, v40                               // 0000000026F4: D1CB0028 04A24D24
	v_fma_f32 v40, v37, v39, v40                               // 0000000026FC: D1CB0028 04A24F25
	v_and_b32_e32 v36, 0xffff, v7                              // 000000002704: 26480EFF 0000FFFF
	v_lshrrev_b32_e32 v37, 16, v7                              // 00000000270C: 204A0E90
	v_and_b32_e32 v38, 0xffff, v19                             // 000000002710: 264C26FF 0000FFFF
	v_lshrrev_b32_e32 v39, 16, v19                             // 000000002718: 204E2690
	v_lshlrev_b32_e32 v36, 16, v36                             // 00000000271C: 24484890
	v_lshlrev_b32_e32 v38, 16, v38                             // 000000002720: 244C4C90
	v_lshlrev_b32_e32 v37, 16, v37                             // 000000002724: 244A4A90
	v_lshlrev_b32_e32 v39, 16, v39                             // 000000002728: 244E4E90
	v_fma_f32 v40, v36, v38, v40                               // 00000000272C: D1CB0028 04A24D24
	v_fma_f32 v40, v37, v39, v40                               // 000000002734: D1CB0028 04A24F25
	v_and_b32_e32 v36, 0xffff, v8                              // 00000000273C: 264810FF 0000FFFF
	v_lshrrev_b32_e32 v37, 16, v8                              // 000000002744: 204A1090
	v_and_b32_e32 v38, 0xffff, v20                             // 000000002748: 264C28FF 0000FFFF
	v_lshrrev_b32_e32 v39, 16, v20                             // 000000002750: 204E2890
	v_lshlrev_b32_e32 v36, 16, v36                             // 000000002754: 24484890
	v_lshlrev_b32_e32 v38, 16, v38                             // 000000002758: 244C4C90
	v_lshlrev_b32_e32 v37, 16, v37                             // 00000000275C: 244A4A90
	v_lshlrev_b32_e32 v39, 16, v39                             // 000000002760: 244E4E90
	v_fma_f32 v40, v36, v38, v40                               // 000000002764: D1CB0028 04A24D24
	v_fma_f32 v40, v37, v39, v40                               // 00000000276C: D1CB0028 04A24F25
	v_and_b32_e32 v36, 0xffff, v9                              // 000000002774: 264812FF 0000FFFF
	v_lshrrev_b32_e32 v37, 16, v9                              // 00000000277C: 204A1290
	v_and_b32_e32 v38, 0xffff, v21                             // 000000002780: 264C2AFF 0000FFFF
	v_lshrrev_b32_e32 v39, 16, v21                             // 000000002788: 204E2A90
	v_lshlrev_b32_e32 v36, 16, v36                             // 00000000278C: 24484890
	v_lshlrev_b32_e32 v38, 16, v38                             // 000000002790: 244C4C90
	v_lshlrev_b32_e32 v37, 16, v37                             // 000000002794: 244A4A90
	v_lshlrev_b32_e32 v39, 16, v39                             // 000000002798: 244E4E90
	v_fma_f32 v40, v36, v38, v40                               // 00000000279C: D1CB0028 04A24D24
	v_fma_f32 v40, v37, v39, v40                               // 0000000027A4: D1CB0028 04A24F25
	ds_write_b32 v32, v40                                      // 0000000027AC: D81A0000 00002820
	s_waitcnt lgkmcnt(0)                                       // 0000000027B4: BF8CC07F
	s_mov_b64 exec, s[48:49]                                   // 0000000027B8: BEFE0130
	ds_read_b128 v[36:39], v34                                 // 0000000027BC: D9FE0000 24000022
	s_waitcnt lgkmcnt(0)                                       // 0000000027C4: BF8CC07F
	ds_read_b128 v[40:43], v35                                 // 0000000027C8: D9FE0000 28000023
	s_waitcnt lgkmcnt(0)                                       // 0000000027D0: BF8CC07F
	v_add_f32_e32 v30, v36, v30                                // 0000000027D4: 023C3D24
	v_add_f32_e32 v30, v37, v30                                // 0000000027D8: 023C3D25
	v_add_f32_e32 v30, v38, v30                                // 0000000027DC: 023C3D26
	v_add_f32_e32 v30, v39, v30                                // 0000000027E0: 023C3D27
	v_add_f32_e32 v30, v40, v30                                // 0000000027E4: 023C3D28
	v_add_f32_e32 v30, v41, v30                                // 0000000027E8: 023C3D29
	v_add_f32_e32 v30, v42, v30                                // 0000000027EC: 023C3D2A
	v_add_f32_e32 v30, v43, v30                                // 0000000027F0: 023C3D2B
	s_mov_b64 exec, -1                                         // 0000000027F4: BEFE01C1
	s_waitcnt vmcnt(0) expcnt(0) lgkmcnt(0)                    // 0000000027F8: BF8C0000
	s_barrier                                                  // 0000000027FC: BF8A0000
	v_mov_b32_e32 v26, 0                                       // 000000002800: 7E340280
	v_mov_b32_e32 v14, 0                                       // 000000002804: 7E1C0280
	v_mov_b32_e32 v27, 0                                       // 000000002808: 7E360280
	v_mov_b32_e32 v15, 0                                       // 00000000280C: 7E1E0280
	v_mov_b32_e32 v28, 0                                       // 000000002810: 7E380280
	v_mov_b32_e32 v16, 0                                       // 000000002814: 7E200280
	v_mov_b32_e32 v29, 0                                       // 000000002818: 7E3A0280
	v_mov_b32_e32 v17, 0                                       // 00000000281C: 7E220280
	s_mov_b64 exec, s[36:37]                                   // 000000002820: BEFE0124
	buffer_load_dwordx4 v[26:29], v46, s[20:23], 0 offen       // 000000002824: E05C1000 80051A2E
	buffer_load_dwordx4 v[14:17], v31, s[12:15], 0 offen       // 00000000282C: E05C1000 80030E1F
	s_mov_b64 exec, -1                                         // 000000002834: BEFE01C1
	v_add_u32_e32 v31, 0x80, v31                               // 000000002838: 683E3EFF 00000080
	v_add_u32_e32 v46, 0x80, v46                               // 000000002840: 685C5CFF 00000080
	v_mov_b32_e32 v40, 0                                       // 000000002848: 7E500280
	v_and_b32_e32 v36, 0xffff, v10                             // 00000000284C: 264814FF 0000FFFF
	v_lshrrev_b32_e32 v37, 16, v10                             // 000000002854: 204A1490
	v_and_b32_e32 v38, 0xffff, v22                             // 000000002858: 264C2CFF 0000FFFF
	v_lshrrev_b32_e32 v39, 16, v22                             // 000000002860: 204E2C90
	v_lshlrev_b32_e32 v36, 16, v36                             // 000000002864: 24484890
	v_lshlrev_b32_e32 v38, 16, v38                             // 000000002868: 244C4C90
	v_lshlrev_b32_e32 v37, 16, v37                             // 00000000286C: 244A4A90
	v_lshlrev_b32_e32 v39, 16, v39                             // 000000002870: 244E4E90
	v_fma_f32 v40, v36, v38, v40                               // 000000002874: D1CB0028 04A24D24
	v_fma_f32 v40, v37, v39, v40                               // 00000000287C: D1CB0028 04A24F25
	v_and_b32_e32 v36, 0xffff, v11                             // 000000002884: 264816FF 0000FFFF
	v_lshrrev_b32_e32 v37, 16, v11                             // 00000000288C: 204A1690
	v_and_b32_e32 v38, 0xffff, v23                             // 000000002890: 264C2EFF 0000FFFF
	v_lshrrev_b32_e32 v39, 16, v23                             // 000000002898: 204E2E90
	v_lshlrev_b32_e32 v36, 16, v36                             // 00000000289C: 24484890
	v_lshlrev_b32_e32 v38, 16, v38                             // 0000000028A0: 244C4C90
	v_lshlrev_b32_e32 v37, 16, v37                             // 0000000028A4: 244A4A90
	v_lshlrev_b32_e32 v39, 16, v39                             // 0000000028A8: 244E4E90
	v_fma_f32 v40, v36, v38, v40                               // 0000000028AC: D1CB0028 04A24D24
	v_fma_f32 v40, v37, v39, v40                               // 0000000028B4: D1CB0028 04A24F25
	v_and_b32_e32 v36, 0xffff, v12                             // 0000000028BC: 264818FF 0000FFFF
	v_lshrrev_b32_e32 v37, 16, v12                             // 0000000028C4: 204A1890
	v_and_b32_e32 v38, 0xffff, v24                             // 0000000028C8: 264C30FF 0000FFFF
	v_lshrrev_b32_e32 v39, 16, v24                             // 0000000028D0: 204E3090
	v_lshlrev_b32_e32 v36, 16, v36                             // 0000000028D4: 24484890
	v_lshlrev_b32_e32 v38, 16, v38                             // 0000000028D8: 244C4C90
	v_lshlrev_b32_e32 v37, 16, v37                             // 0000000028DC: 244A4A90
	v_lshlrev_b32_e32 v39, 16, v39                             // 0000000028E0: 244E4E90
	v_fma_f32 v40, v36, v38, v40                               // 0000000028E4: D1CB0028 04A24D24
	v_fma_f32 v40, v37, v39, v40                               // 0000000028EC: D1CB0028 04A24F25
	v_and_b32_e32 v36, 0xffff, v13                             // 0000000028F4: 26481AFF 0000FFFF
	v_lshrrev_b32_e32 v37, 16, v13                             // 0000000028FC: 204A1A90
	v_and_b32_e32 v38, 0xffff, v25                             // 000000002900: 264C32FF 0000FFFF
	v_lshrrev_b32_e32 v39, 16, v25                             // 000000002908: 204E3290
	v_lshlrev_b32_e32 v36, 16, v36                             // 00000000290C: 24484890
	v_lshlrev_b32_e32 v38, 16, v38                             // 000000002910: 244C4C90
	v_lshlrev_b32_e32 v37, 16, v37                             // 000000002914: 244A4A90
	v_lshlrev_b32_e32 v39, 16, v39                             // 000000002918: 244E4E90
	v_fma_f32 v40, v36, v38, v40                               // 00000000291C: D1CB0028 04A24D24
	v_fma_f32 v40, v37, v39, v40                               // 000000002924: D1CB0028 04A24F25
	ds_write_b32 v32, v40                                      // 00000000292C: D81A0000 00002820
	s_waitcnt lgkmcnt(0)                                       // 000000002934: BF8CC07F
	s_mov_b64 exec, s[48:49]                                   // 000000002938: BEFE0130
	ds_read_b128 v[36:39], v34                                 // 00000000293C: D9FE0000 24000022
	s_waitcnt lgkmcnt(0)                                       // 000000002944: BF8CC07F
	ds_read_b128 v[40:43], v35                                 // 000000002948: D9FE0000 28000023
	s_waitcnt lgkmcnt(0)                                       // 000000002950: BF8CC07F
	v_add_f32_e32 v30, v36, v30                                // 000000002954: 023C3D24
	v_add_f32_e32 v30, v37, v30                                // 000000002958: 023C3D25
	v_add_f32_e32 v30, v38, v30                                // 00000000295C: 023C3D26
	v_add_f32_e32 v30, v39, v30                                // 000000002960: 023C3D27
	v_add_f32_e32 v30, v40, v30                                // 000000002964: 023C3D28
	v_add_f32_e32 v30, v41, v30                                // 000000002968: 023C3D29
	v_add_f32_e32 v30, v42, v30                                // 00000000296C: 023C3D2A
	v_add_f32_e32 v30, v43, v30                                // 000000002970: 023C3D2B
	s_mov_b64 exec, -1                                         // 000000002974: BEFE01C1
	s_waitcnt vmcnt(0) expcnt(0) lgkmcnt(0)                    // 000000002978: BF8C0000
	s_barrier                                                  // 00000000297C: BF8A0000
	v_mov_b32_e32 v40, 0                                       // 000000002980: 7E500280
	v_and_b32_e32 v36, 0xffff, v14                             // 000000002984: 26481CFF 0000FFFF
	v_lshrrev_b32_e32 v37, 16, v14                             // 00000000298C: 204A1C90
	v_and_b32_e32 v38, 0xffff, v26                             // 000000002990: 264C34FF 0000FFFF
	v_lshrrev_b32_e32 v39, 16, v26                             // 000000002998: 204E3490
	v_lshlrev_b32_e32 v36, 16, v36                             // 00000000299C: 24484890
	v_lshlrev_b32_e32 v38, 16, v38                             // 0000000029A0: 244C4C90
	v_lshlrev_b32_e32 v37, 16, v37                             // 0000000029A4: 244A4A90
	v_lshlrev_b32_e32 v39, 16, v39                             // 0000000029A8: 244E4E90
	v_fma_f32 v40, v36, v38, v40                               // 0000000029AC: D1CB0028 04A24D24
	v_fma_f32 v40, v37, v39, v40                               // 0000000029B4: D1CB0028 04A24F25
	v_and_b32_e32 v36, 0xffff, v15                             // 0000000029BC: 26481EFF 0000FFFF
	v_lshrrev_b32_e32 v37, 16, v15                             // 0000000029C4: 204A1E90
	v_and_b32_e32 v38, 0xffff, v27                             // 0000000029C8: 264C36FF 0000FFFF
	v_lshrrev_b32_e32 v39, 16, v27                             // 0000000029D0: 204E3690
	v_lshlrev_b32_e32 v36, 16, v36                             // 0000000029D4: 24484890
	v_lshlrev_b32_e32 v38, 16, v38                             // 0000000029D8: 244C4C90
	v_lshlrev_b32_e32 v37, 16, v37                             // 0000000029DC: 244A4A90
	v_lshlrev_b32_e32 v39, 16, v39                             // 0000000029E0: 244E4E90
	v_fma_f32 v40, v36, v38, v40                               // 0000000029E4: D1CB0028 04A24D24
	v_fma_f32 v40, v37, v39, v40                               // 0000000029EC: D1CB0028 04A24F25
	v_and_b32_e32 v36, 0xffff, v16                             // 0000000029F4: 264820FF 0000FFFF
	v_lshrrev_b32_e32 v37, 16, v16                             // 0000000029FC: 204A2090
	v_and_b32_e32 v38, 0xffff, v28                             // 000000002A00: 264C38FF 0000FFFF
	v_lshrrev_b32_e32 v39, 16, v28                             // 000000002A08: 204E3890
	v_lshlrev_b32_e32 v36, 16, v36                             // 000000002A0C: 24484890
	v_lshlrev_b32_e32 v38, 16, v38                             // 000000002A10: 244C4C90
	v_lshlrev_b32_e32 v37, 16, v37                             // 000000002A14: 244A4A90
	v_lshlrev_b32_e32 v39, 16, v39                             // 000000002A18: 244E4E90
	v_fma_f32 v40, v36, v38, v40                               // 000000002A1C: D1CB0028 04A24D24
	v_fma_f32 v40, v37, v39, v40                               // 000000002A24: D1CB0028 04A24F25
	v_and_b32_e32 v36, 0xffff, v17                             // 000000002A2C: 264822FF 0000FFFF
	v_lshrrev_b32_e32 v37, 16, v17                             // 000000002A34: 204A2290
	v_and_b32_e32 v38, 0xffff, v29                             // 000000002A38: 264C3AFF 0000FFFF
	v_lshrrev_b32_e32 v39, 16, v29                             // 000000002A40: 204E3A90
	v_lshlrev_b32_e32 v36, 16, v36                             // 000000002A44: 24484890
	v_lshlrev_b32_e32 v38, 16, v38                             // 000000002A48: 244C4C90
	v_lshlrev_b32_e32 v37, 16, v37                             // 000000002A4C: 244A4A90
	v_lshlrev_b32_e32 v39, 16, v39                             // 000000002A50: 244E4E90
	v_fma_f32 v40, v36, v38, v40                               // 000000002A54: D1CB0028 04A24D24
	v_fma_f32 v40, v37, v39, v40                               // 000000002A5C: D1CB0028 04A24F25
	ds_write_b32 v32, v40                                      // 000000002A64: D81A0000 00002820
	s_waitcnt lgkmcnt(0)                                       // 000000002A6C: BF8CC07F
	s_mov_b64 exec, s[48:49]                                   // 000000002A70: BEFE0130
	ds_read_b128 v[36:39], v34                                 // 000000002A74: D9FE0000 24000022
	s_waitcnt lgkmcnt(0)                                       // 000000002A7C: BF8CC07F
	ds_read_b128 v[40:43], v35                                 // 000000002A80: D9FE0000 28000023
	s_waitcnt lgkmcnt(0)                                       // 000000002A88: BF8CC07F
	v_add_f32_e32 v30, v36, v30                                // 000000002A8C: 023C3D24
	v_add_f32_e32 v30, v37, v30                                // 000000002A90: 023C3D25
	v_add_f32_e32 v30, v38, v30                                // 000000002A94: 023C3D26
	v_add_f32_e32 v30, v39, v30                                // 000000002A98: 023C3D27
	v_add_f32_e32 v30, v40, v30                                // 000000002A9C: 023C3D28
	v_add_f32_e32 v30, v41, v30                                // 000000002AA0: 023C3D29
	v_add_f32_e32 v30, v42, v30                                // 000000002AA4: 023C3D2A
	v_add_f32_e32 v30, v43, v30                                // 000000002AA8: 023C3D2B
	s_mov_b64 exec, -1                                         // 000000002AAC: BEFE01C1
	s_mul_i32 s31, s8, 1                                       // 000000002AB0: 921F8108
	s_lshl_b32 s31, s31, 3                                     // 000000002AB4: 8E1F831F
	v_add_u32_e32 v31, s31, v4                                 // 000000002AB8: 683E081F
	s_mul_i32 s31, s52, 1                                      // 000000002ABC: 921F8134
	s_lshl_b32 s31, s31, 3                                     // 000000002AC0: 8E1F831F
	v_add_u32_e32 v46, s31, v45                                // 000000002AC4: 685C5A1F
	v_and_b32_e32 v44, 7, v0                                   // 000000002AC8: 26580087
	v_cmp_eq_u32_e64 s[48:49], v44, 2                          // 000000002ACC: D0CA0030 0001052C
	buffer_load_dwordx4 v[18:21], v46, s[20:23], 0 offen       // 000000002AD4: E05C1000 8005122E
	buffer_load_dwordx4 v[6:9], v31, s[12:15], 0 offen         // 000000002ADC: E05C1000 8003061F
	v_add_u32_e32 v31, 0x80, v31                               // 000000002AE4: 683E3EFF 00000080
	v_add_u32_e32 v46, 0x80, v46                               // 000000002AEC: 685C5CFF 00000080
	s_waitcnt vmcnt(0) expcnt(0) lgkmcnt(0)                    // 000000002AF4: BF8C0000
	s_barrier                                                  // 000000002AF8: BF8A0000
	buffer_load_dwordx4 v[22:25], v46, s[20:23], 0 offen       // 000000002AFC: E05C1000 8005162E
	buffer_load_dwordx4 v[10:13], v31, s[12:15], 0 offen       // 000000002B04: E05C1000 80030A1F
	v_add_u32_e32 v31, 0x80, v31                               // 000000002B0C: 683E3EFF 00000080
	v_add_u32_e32 v46, 0x80, v46                               // 000000002B14: 685C5CFF 00000080
	v_mov_b32_e32 v40, 0                                       // 000000002B1C: 7E500280
	v_and_b32_e32 v36, 0xffff, v6                              // 000000002B20: 26480CFF 0000FFFF
	v_lshrrev_b32_e32 v37, 16, v6                              // 000000002B28: 204A0C90
	v_and_b32_e32 v38, 0xffff, v18                             // 000000002B2C: 264C24FF 0000FFFF
	v_lshrrev_b32_e32 v39, 16, v18                             // 000000002B34: 204E2490
	v_lshlrev_b32_e32 v36, 16, v36                             // 000000002B38: 24484890
	v_lshlrev_b32_e32 v38, 16, v38                             // 000000002B3C: 244C4C90
	v_lshlrev_b32_e32 v37, 16, v37                             // 000000002B40: 244A4A90
	v_lshlrev_b32_e32 v39, 16, v39                             // 000000002B44: 244E4E90
	v_fma_f32 v40, v36, v38, v40                               // 000000002B48: D1CB0028 04A24D24
	v_fma_f32 v40, v37, v39, v40                               // 000000002B50: D1CB0028 04A24F25
	v_and_b32_e32 v36, 0xffff, v7                              // 000000002B58: 26480EFF 0000FFFF
	v_lshrrev_b32_e32 v37, 16, v7                              // 000000002B60: 204A0E90
	v_and_b32_e32 v38, 0xffff, v19                             // 000000002B64: 264C26FF 0000FFFF
	v_lshrrev_b32_e32 v39, 16, v19                             // 000000002B6C: 204E2690
	v_lshlrev_b32_e32 v36, 16, v36                             // 000000002B70: 24484890
	v_lshlrev_b32_e32 v38, 16, v38                             // 000000002B74: 244C4C90
	v_lshlrev_b32_e32 v37, 16, v37                             // 000000002B78: 244A4A90
	v_lshlrev_b32_e32 v39, 16, v39                             // 000000002B7C: 244E4E90
	v_fma_f32 v40, v36, v38, v40                               // 000000002B80: D1CB0028 04A24D24
	v_fma_f32 v40, v37, v39, v40                               // 000000002B88: D1CB0028 04A24F25
	v_and_b32_e32 v36, 0xffff, v8                              // 000000002B90: 264810FF 0000FFFF
	v_lshrrev_b32_e32 v37, 16, v8                              // 000000002B98: 204A1090
	v_and_b32_e32 v38, 0xffff, v20                             // 000000002B9C: 264C28FF 0000FFFF
	v_lshrrev_b32_e32 v39, 16, v20                             // 000000002BA4: 204E2890
	v_lshlrev_b32_e32 v36, 16, v36                             // 000000002BA8: 24484890
	v_lshlrev_b32_e32 v38, 16, v38                             // 000000002BAC: 244C4C90
	v_lshlrev_b32_e32 v37, 16, v37                             // 000000002BB0: 244A4A90
	v_lshlrev_b32_e32 v39, 16, v39                             // 000000002BB4: 244E4E90
	v_fma_f32 v40, v36, v38, v40                               // 000000002BB8: D1CB0028 04A24D24
	v_fma_f32 v40, v37, v39, v40                               // 000000002BC0: D1CB0028 04A24F25
	v_and_b32_e32 v36, 0xffff, v9                              // 000000002BC8: 264812FF 0000FFFF
	v_lshrrev_b32_e32 v37, 16, v9                              // 000000002BD0: 204A1290
	v_and_b32_e32 v38, 0xffff, v21                             // 000000002BD4: 264C2AFF 0000FFFF
	v_lshrrev_b32_e32 v39, 16, v21                             // 000000002BDC: 204E2A90
	v_lshlrev_b32_e32 v36, 16, v36                             // 000000002BE0: 24484890
	v_lshlrev_b32_e32 v38, 16, v38                             // 000000002BE4: 244C4C90
	v_lshlrev_b32_e32 v37, 16, v37                             // 000000002BE8: 244A4A90
	v_lshlrev_b32_e32 v39, 16, v39                             // 000000002BEC: 244E4E90
	v_fma_f32 v40, v36, v38, v40                               // 000000002BF0: D1CB0028 04A24D24
	v_fma_f32 v40, v37, v39, v40                               // 000000002BF8: D1CB0028 04A24F25
	ds_write_b32 v32, v40                                      // 000000002C00: D81A0000 00002820
	s_waitcnt lgkmcnt(0)                                       // 000000002C08: BF8CC07F
	s_mov_b64 exec, s[48:49]                                   // 000000002C0C: BEFE0130
	ds_read_b128 v[36:39], v34                                 // 000000002C10: D9FE0000 24000022
	s_waitcnt lgkmcnt(0)                                       // 000000002C18: BF8CC07F
	ds_read_b128 v[40:43], v35                                 // 000000002C1C: D9FE0000 28000023
	s_waitcnt lgkmcnt(0)                                       // 000000002C24: BF8CC07F
	v_add_f32_e32 v30, v36, v30                                // 000000002C28: 023C3D24
	v_add_f32_e32 v30, v37, v30                                // 000000002C2C: 023C3D25
	v_add_f32_e32 v30, v38, v30                                // 000000002C30: 023C3D26
	v_add_f32_e32 v30, v39, v30                                // 000000002C34: 023C3D27
	v_add_f32_e32 v30, v40, v30                                // 000000002C38: 023C3D28
	v_add_f32_e32 v30, v41, v30                                // 000000002C3C: 023C3D29
	v_add_f32_e32 v30, v42, v30                                // 000000002C40: 023C3D2A
	v_add_f32_e32 v30, v43, v30                                // 000000002C44: 023C3D2B
	s_mov_b64 exec, -1                                         // 000000002C48: BEFE01C1
	s_waitcnt vmcnt(0) expcnt(0) lgkmcnt(0)                    // 000000002C4C: BF8C0000
	s_barrier                                                  // 000000002C50: BF8A0000
	v_mov_b32_e32 v26, 0                                       // 000000002C54: 7E340280
	v_mov_b32_e32 v14, 0                                       // 000000002C58: 7E1C0280
	v_mov_b32_e32 v27, 0                                       // 000000002C5C: 7E360280
	v_mov_b32_e32 v15, 0                                       // 000000002C60: 7E1E0280
	v_mov_b32_e32 v28, 0                                       // 000000002C64: 7E380280
	v_mov_b32_e32 v16, 0                                       // 000000002C68: 7E200280
	v_mov_b32_e32 v29, 0                                       // 000000002C6C: 7E3A0280
	v_mov_b32_e32 v17, 0                                       // 000000002C70: 7E220280
	s_mov_b64 exec, s[36:37]                                   // 000000002C74: BEFE0124
	buffer_load_dwordx4 v[26:29], v46, s[20:23], 0 offen       // 000000002C78: E05C1000 80051A2E
	buffer_load_dwordx4 v[14:17], v31, s[12:15], 0 offen       // 000000002C80: E05C1000 80030E1F
	s_mov_b64 exec, -1                                         // 000000002C88: BEFE01C1
	v_add_u32_e32 v31, 0x80, v31                               // 000000002C8C: 683E3EFF 00000080
	v_add_u32_e32 v46, 0x80, v46                               // 000000002C94: 685C5CFF 00000080
	v_mov_b32_e32 v40, 0                                       // 000000002C9C: 7E500280
	v_and_b32_e32 v36, 0xffff, v10                             // 000000002CA0: 264814FF 0000FFFF
	v_lshrrev_b32_e32 v37, 16, v10                             // 000000002CA8: 204A1490
	v_and_b32_e32 v38, 0xffff, v22                             // 000000002CAC: 264C2CFF 0000FFFF
	v_lshrrev_b32_e32 v39, 16, v22                             // 000000002CB4: 204E2C90
	v_lshlrev_b32_e32 v36, 16, v36                             // 000000002CB8: 24484890
	v_lshlrev_b32_e32 v38, 16, v38                             // 000000002CBC: 244C4C90
	v_lshlrev_b32_e32 v37, 16, v37                             // 000000002CC0: 244A4A90
	v_lshlrev_b32_e32 v39, 16, v39                             // 000000002CC4: 244E4E90
	v_fma_f32 v40, v36, v38, v40                               // 000000002CC8: D1CB0028 04A24D24
	v_fma_f32 v40, v37, v39, v40                               // 000000002CD0: D1CB0028 04A24F25
	v_and_b32_e32 v36, 0xffff, v11                             // 000000002CD8: 264816FF 0000FFFF
	v_lshrrev_b32_e32 v37, 16, v11                             // 000000002CE0: 204A1690
	v_and_b32_e32 v38, 0xffff, v23                             // 000000002CE4: 264C2EFF 0000FFFF
	v_lshrrev_b32_e32 v39, 16, v23                             // 000000002CEC: 204E2E90
	v_lshlrev_b32_e32 v36, 16, v36                             // 000000002CF0: 24484890
	v_lshlrev_b32_e32 v38, 16, v38                             // 000000002CF4: 244C4C90
	v_lshlrev_b32_e32 v37, 16, v37                             // 000000002CF8: 244A4A90
	v_lshlrev_b32_e32 v39, 16, v39                             // 000000002CFC: 244E4E90
	v_fma_f32 v40, v36, v38, v40                               // 000000002D00: D1CB0028 04A24D24
	v_fma_f32 v40, v37, v39, v40                               // 000000002D08: D1CB0028 04A24F25
	v_and_b32_e32 v36, 0xffff, v12                             // 000000002D10: 264818FF 0000FFFF
	v_lshrrev_b32_e32 v37, 16, v12                             // 000000002D18: 204A1890
	v_and_b32_e32 v38, 0xffff, v24                             // 000000002D1C: 264C30FF 0000FFFF
	v_lshrrev_b32_e32 v39, 16, v24                             // 000000002D24: 204E3090
	v_lshlrev_b32_e32 v36, 16, v36                             // 000000002D28: 24484890
	v_lshlrev_b32_e32 v38, 16, v38                             // 000000002D2C: 244C4C90
	v_lshlrev_b32_e32 v37, 16, v37                             // 000000002D30: 244A4A90
	v_lshlrev_b32_e32 v39, 16, v39                             // 000000002D34: 244E4E90
	v_fma_f32 v40, v36, v38, v40                               // 000000002D38: D1CB0028 04A24D24
	v_fma_f32 v40, v37, v39, v40                               // 000000002D40: D1CB0028 04A24F25
	v_and_b32_e32 v36, 0xffff, v13                             // 000000002D48: 26481AFF 0000FFFF
	v_lshrrev_b32_e32 v37, 16, v13                             // 000000002D50: 204A1A90
	v_and_b32_e32 v38, 0xffff, v25                             // 000000002D54: 264C32FF 0000FFFF
	v_lshrrev_b32_e32 v39, 16, v25                             // 000000002D5C: 204E3290
	v_lshlrev_b32_e32 v36, 16, v36                             // 000000002D60: 24484890
	v_lshlrev_b32_e32 v38, 16, v38                             // 000000002D64: 244C4C90
	v_lshlrev_b32_e32 v37, 16, v37                             // 000000002D68: 244A4A90
	v_lshlrev_b32_e32 v39, 16, v39                             // 000000002D6C: 244E4E90
	v_fma_f32 v40, v36, v38, v40                               // 000000002D70: D1CB0028 04A24D24
	v_fma_f32 v40, v37, v39, v40                               // 000000002D78: D1CB0028 04A24F25
	ds_write_b32 v32, v40                                      // 000000002D80: D81A0000 00002820
	s_waitcnt lgkmcnt(0)                                       // 000000002D88: BF8CC07F
	s_mov_b64 exec, s[48:49]                                   // 000000002D8C: BEFE0130
	ds_read_b128 v[36:39], v34                                 // 000000002D90: D9FE0000 24000022
	s_waitcnt lgkmcnt(0)                                       // 000000002D98: BF8CC07F
	ds_read_b128 v[40:43], v35                                 // 000000002D9C: D9FE0000 28000023
	s_waitcnt lgkmcnt(0)                                       // 000000002DA4: BF8CC07F
	v_add_f32_e32 v30, v36, v30                                // 000000002DA8: 023C3D24
	v_add_f32_e32 v30, v37, v30                                // 000000002DAC: 023C3D25
	v_add_f32_e32 v30, v38, v30                                // 000000002DB0: 023C3D26
	v_add_f32_e32 v30, v39, v30                                // 000000002DB4: 023C3D27
	v_add_f32_e32 v30, v40, v30                                // 000000002DB8: 023C3D28
	v_add_f32_e32 v30, v41, v30                                // 000000002DBC: 023C3D29
	v_add_f32_e32 v30, v42, v30                                // 000000002DC0: 023C3D2A
	v_add_f32_e32 v30, v43, v30                                // 000000002DC4: 023C3D2B
	s_mov_b64 exec, -1                                         // 000000002DC8: BEFE01C1
	s_waitcnt vmcnt(0) expcnt(0) lgkmcnt(0)                    // 000000002DCC: BF8C0000
	s_barrier                                                  // 000000002DD0: BF8A0000
	v_mov_b32_e32 v40, 0                                       // 000000002DD4: 7E500280
	v_and_b32_e32 v36, 0xffff, v14                             // 000000002DD8: 26481CFF 0000FFFF
	v_lshrrev_b32_e32 v37, 16, v14                             // 000000002DE0: 204A1C90
	v_and_b32_e32 v38, 0xffff, v26                             // 000000002DE4: 264C34FF 0000FFFF
	v_lshrrev_b32_e32 v39, 16, v26                             // 000000002DEC: 204E3490
	v_lshlrev_b32_e32 v36, 16, v36                             // 000000002DF0: 24484890
	v_lshlrev_b32_e32 v38, 16, v38                             // 000000002DF4: 244C4C90
	v_lshlrev_b32_e32 v37, 16, v37                             // 000000002DF8: 244A4A90
	v_lshlrev_b32_e32 v39, 16, v39                             // 000000002DFC: 244E4E90
	v_fma_f32 v40, v36, v38, v40                               // 000000002E00: D1CB0028 04A24D24
	v_fma_f32 v40, v37, v39, v40                               // 000000002E08: D1CB0028 04A24F25
	v_and_b32_e32 v36, 0xffff, v15                             // 000000002E10: 26481EFF 0000FFFF
	v_lshrrev_b32_e32 v37, 16, v15                             // 000000002E18: 204A1E90
	v_and_b32_e32 v38, 0xffff, v27                             // 000000002E1C: 264C36FF 0000FFFF
	v_lshrrev_b32_e32 v39, 16, v27                             // 000000002E24: 204E3690
	v_lshlrev_b32_e32 v36, 16, v36                             // 000000002E28: 24484890
	v_lshlrev_b32_e32 v38, 16, v38                             // 000000002E2C: 244C4C90
	v_lshlrev_b32_e32 v37, 16, v37                             // 000000002E30: 244A4A90
	v_lshlrev_b32_e32 v39, 16, v39                             // 000000002E34: 244E4E90
	v_fma_f32 v40, v36, v38, v40                               // 000000002E38: D1CB0028 04A24D24
	v_fma_f32 v40, v37, v39, v40                               // 000000002E40: D1CB0028 04A24F25
	v_and_b32_e32 v36, 0xffff, v16                             // 000000002E48: 264820FF 0000FFFF
	v_lshrrev_b32_e32 v37, 16, v16                             // 000000002E50: 204A2090
	v_and_b32_e32 v38, 0xffff, v28                             // 000000002E54: 264C38FF 0000FFFF
	v_lshrrev_b32_e32 v39, 16, v28                             // 000000002E5C: 204E3890
	v_lshlrev_b32_e32 v36, 16, v36                             // 000000002E60: 24484890
	v_lshlrev_b32_e32 v38, 16, v38                             // 000000002E64: 244C4C90
	v_lshlrev_b32_e32 v37, 16, v37                             // 000000002E68: 244A4A90
	v_lshlrev_b32_e32 v39, 16, v39                             // 000000002E6C: 244E4E90
	v_fma_f32 v40, v36, v38, v40                               // 000000002E70: D1CB0028 04A24D24
	v_fma_f32 v40, v37, v39, v40                               // 000000002E78: D1CB0028 04A24F25
	v_and_b32_e32 v36, 0xffff, v17                             // 000000002E80: 264822FF 0000FFFF
	v_lshrrev_b32_e32 v37, 16, v17                             // 000000002E88: 204A2290
	v_and_b32_e32 v38, 0xffff, v29                             // 000000002E8C: 264C3AFF 0000FFFF
	v_lshrrev_b32_e32 v39, 16, v29                             // 000000002E94: 204E3A90
	v_lshlrev_b32_e32 v36, 16, v36                             // 000000002E98: 24484890
	v_lshlrev_b32_e32 v38, 16, v38                             // 000000002E9C: 244C4C90
	v_lshlrev_b32_e32 v37, 16, v37                             // 000000002EA0: 244A4A90
	v_lshlrev_b32_e32 v39, 16, v39                             // 000000002EA4: 244E4E90
	v_fma_f32 v40, v36, v38, v40                               // 000000002EA8: D1CB0028 04A24D24
	v_fma_f32 v40, v37, v39, v40                               // 000000002EB0: D1CB0028 04A24F25
	ds_write_b32 v32, v40                                      // 000000002EB8: D81A0000 00002820
	s_waitcnt lgkmcnt(0)                                       // 000000002EC0: BF8CC07F
	s_mov_b64 exec, s[48:49]                                   // 000000002EC4: BEFE0130
	ds_read_b128 v[36:39], v34                                 // 000000002EC8: D9FE0000 24000022
	s_waitcnt lgkmcnt(0)                                       // 000000002ED0: BF8CC07F
	ds_read_b128 v[40:43], v35                                 // 000000002ED4: D9FE0000 28000023
	s_waitcnt lgkmcnt(0)                                       // 000000002EDC: BF8CC07F
	v_add_f32_e32 v30, v36, v30                                // 000000002EE0: 023C3D24
	v_add_f32_e32 v30, v37, v30                                // 000000002EE4: 023C3D25
	v_add_f32_e32 v30, v38, v30                                // 000000002EE8: 023C3D26
	v_add_f32_e32 v30, v39, v30                                // 000000002EEC: 023C3D27
	v_add_f32_e32 v30, v40, v30                                // 000000002EF0: 023C3D28
	v_add_f32_e32 v30, v41, v30                                // 000000002EF4: 023C3D29
	v_add_f32_e32 v30, v42, v30                                // 000000002EF8: 023C3D2A
	v_add_f32_e32 v30, v43, v30                                // 000000002EFC: 023C3D2B
	s_mov_b64 exec, -1                                         // 000000002F00: BEFE01C1
	s_mul_i32 s31, s8, 2                                       // 000000002F04: 921F8208
	s_lshl_b32 s31, s31, 3                                     // 000000002F08: 8E1F831F
	v_add_u32_e32 v31, s31, v4                                 // 000000002F0C: 683E081F
	s_mul_i32 s31, s52, 2                                      // 000000002F10: 921F8234
	s_lshl_b32 s31, s31, 3                                     // 000000002F14: 8E1F831F
	v_add_u32_e32 v46, s31, v45                                // 000000002F18: 685C5A1F
	v_and_b32_e32 v44, 7, v0                                   // 000000002F1C: 26580087
	v_cmp_eq_u32_e64 s[48:49], v44, 4                          // 000000002F20: D0CA0030 0001092C
	buffer_load_dwordx4 v[18:21], v46, s[20:23], 0 offen       // 000000002F28: E05C1000 8005122E
	buffer_load_dwordx4 v[6:9], v31, s[12:15], 0 offen         // 000000002F30: E05C1000 8003061F
	v_add_u32_e32 v31, 0x80, v31                               // 000000002F38: 683E3EFF 00000080
	v_add_u32_e32 v46, 0x80, v46                               // 000000002F40: 685C5CFF 00000080
	s_waitcnt vmcnt(0) expcnt(0) lgkmcnt(0)                    // 000000002F48: BF8C0000
	s_barrier                                                  // 000000002F4C: BF8A0000
	buffer_load_dwordx4 v[22:25], v46, s[20:23], 0 offen       // 000000002F50: E05C1000 8005162E
	buffer_load_dwordx4 v[10:13], v31, s[12:15], 0 offen       // 000000002F58: E05C1000 80030A1F
	v_add_u32_e32 v31, 0x80, v31                               // 000000002F60: 683E3EFF 00000080
	v_add_u32_e32 v46, 0x80, v46                               // 000000002F68: 685C5CFF 00000080
	v_mov_b32_e32 v40, 0                                       // 000000002F70: 7E500280
	v_and_b32_e32 v36, 0xffff, v6                              // 000000002F74: 26480CFF 0000FFFF
	v_lshrrev_b32_e32 v37, 16, v6                              // 000000002F7C: 204A0C90
	v_and_b32_e32 v38, 0xffff, v18                             // 000000002F80: 264C24FF 0000FFFF
	v_lshrrev_b32_e32 v39, 16, v18                             // 000000002F88: 204E2490
	v_lshlrev_b32_e32 v36, 16, v36                             // 000000002F8C: 24484890
	v_lshlrev_b32_e32 v38, 16, v38                             // 000000002F90: 244C4C90
	v_lshlrev_b32_e32 v37, 16, v37                             // 000000002F94: 244A4A90
	v_lshlrev_b32_e32 v39, 16, v39                             // 000000002F98: 244E4E90
	v_fma_f32 v40, v36, v38, v40                               // 000000002F9C: D1CB0028 04A24D24
	v_fma_f32 v40, v37, v39, v40                               // 000000002FA4: D1CB0028 04A24F25
	v_and_b32_e32 v36, 0xffff, v7                              // 000000002FAC: 26480EFF 0000FFFF
	v_lshrrev_b32_e32 v37, 16, v7                              // 000000002FB4: 204A0E90
	v_and_b32_e32 v38, 0xffff, v19                             // 000000002FB8: 264C26FF 0000FFFF
	v_lshrrev_b32_e32 v39, 16, v19                             // 000000002FC0: 204E2690
	v_lshlrev_b32_e32 v36, 16, v36                             // 000000002FC4: 24484890
	v_lshlrev_b32_e32 v38, 16, v38                             // 000000002FC8: 244C4C90
	v_lshlrev_b32_e32 v37, 16, v37                             // 000000002FCC: 244A4A90
	v_lshlrev_b32_e32 v39, 16, v39                             // 000000002FD0: 244E4E90
	v_fma_f32 v40, v36, v38, v40                               // 000000002FD4: D1CB0028 04A24D24
	v_fma_f32 v40, v37, v39, v40                               // 000000002FDC: D1CB0028 04A24F25
	v_and_b32_e32 v36, 0xffff, v8                              // 000000002FE4: 264810FF 0000FFFF
	v_lshrrev_b32_e32 v37, 16, v8                              // 000000002FEC: 204A1090
	v_and_b32_e32 v38, 0xffff, v20                             // 000000002FF0: 264C28FF 0000FFFF
	v_lshrrev_b32_e32 v39, 16, v20                             // 000000002FF8: 204E2890
	v_lshlrev_b32_e32 v36, 16, v36                             // 000000002FFC: 24484890
	v_lshlrev_b32_e32 v38, 16, v38                             // 000000003000: 244C4C90
	v_lshlrev_b32_e32 v37, 16, v37                             // 000000003004: 244A4A90
	v_lshlrev_b32_e32 v39, 16, v39                             // 000000003008: 244E4E90
	v_fma_f32 v40, v36, v38, v40                               // 00000000300C: D1CB0028 04A24D24
	v_fma_f32 v40, v37, v39, v40                               // 000000003014: D1CB0028 04A24F25
	v_and_b32_e32 v36, 0xffff, v9                              // 00000000301C: 264812FF 0000FFFF
	v_lshrrev_b32_e32 v37, 16, v9                              // 000000003024: 204A1290
	v_and_b32_e32 v38, 0xffff, v21                             // 000000003028: 264C2AFF 0000FFFF
	v_lshrrev_b32_e32 v39, 16, v21                             // 000000003030: 204E2A90
	v_lshlrev_b32_e32 v36, 16, v36                             // 000000003034: 24484890
	v_lshlrev_b32_e32 v38, 16, v38                             // 000000003038: 244C4C90
	v_lshlrev_b32_e32 v37, 16, v37                             // 00000000303C: 244A4A90
	v_lshlrev_b32_e32 v39, 16, v39                             // 000000003040: 244E4E90
	v_fma_f32 v40, v36, v38, v40                               // 000000003044: D1CB0028 04A24D24
	v_fma_f32 v40, v37, v39, v40                               // 00000000304C: D1CB0028 04A24F25
	ds_write_b32 v32, v40                                      // 000000003054: D81A0000 00002820
	s_waitcnt lgkmcnt(0)                                       // 00000000305C: BF8CC07F
	s_mov_b64 exec, s[48:49]                                   // 000000003060: BEFE0130
	ds_read_b128 v[36:39], v34                                 // 000000003064: D9FE0000 24000022
	s_waitcnt lgkmcnt(0)                                       // 00000000306C: BF8CC07F
	ds_read_b128 v[40:43], v35                                 // 000000003070: D9FE0000 28000023
	s_waitcnt lgkmcnt(0)                                       // 000000003078: BF8CC07F
	v_add_f32_e32 v30, v36, v30                                // 00000000307C: 023C3D24
	v_add_f32_e32 v30, v37, v30                                // 000000003080: 023C3D25
	v_add_f32_e32 v30, v38, v30                                // 000000003084: 023C3D26
	v_add_f32_e32 v30, v39, v30                                // 000000003088: 023C3D27
	v_add_f32_e32 v30, v40, v30                                // 00000000308C: 023C3D28
	v_add_f32_e32 v30, v41, v30                                // 000000003090: 023C3D29
	v_add_f32_e32 v30, v42, v30                                // 000000003094: 023C3D2A
	v_add_f32_e32 v30, v43, v30                                // 000000003098: 023C3D2B
	s_mov_b64 exec, -1                                         // 00000000309C: BEFE01C1
	s_waitcnt vmcnt(0) expcnt(0) lgkmcnt(0)                    // 0000000030A0: BF8C0000
	s_barrier                                                  // 0000000030A4: BF8A0000
	v_mov_b32_e32 v26, 0                                       // 0000000030A8: 7E340280
	v_mov_b32_e32 v14, 0                                       // 0000000030AC: 7E1C0280
	v_mov_b32_e32 v27, 0                                       // 0000000030B0: 7E360280
	v_mov_b32_e32 v15, 0                                       // 0000000030B4: 7E1E0280
	v_mov_b32_e32 v28, 0                                       // 0000000030B8: 7E380280
	v_mov_b32_e32 v16, 0                                       // 0000000030BC: 7E200280
	v_mov_b32_e32 v29, 0                                       // 0000000030C0: 7E3A0280
	v_mov_b32_e32 v17, 0                                       // 0000000030C4: 7E220280
	s_mov_b64 exec, s[36:37]                                   // 0000000030C8: BEFE0124
	buffer_load_dwordx4 v[26:29], v46, s[20:23], 0 offen       // 0000000030CC: E05C1000 80051A2E
	buffer_load_dwordx4 v[14:17], v31, s[12:15], 0 offen       // 0000000030D4: E05C1000 80030E1F
	s_mov_b64 exec, -1                                         // 0000000030DC: BEFE01C1
	v_add_u32_e32 v31, 0x80, v31                               // 0000000030E0: 683E3EFF 00000080
	v_add_u32_e32 v46, 0x80, v46                               // 0000000030E8: 685C5CFF 00000080
	v_mov_b32_e32 v40, 0                                       // 0000000030F0: 7E500280
	v_and_b32_e32 v36, 0xffff, v10                             // 0000000030F4: 264814FF 0000FFFF
	v_lshrrev_b32_e32 v37, 16, v10                             // 0000000030FC: 204A1490
	v_and_b32_e32 v38, 0xffff, v22                             // 000000003100: 264C2CFF 0000FFFF
	v_lshrrev_b32_e32 v39, 16, v22                             // 000000003108: 204E2C90
	v_lshlrev_b32_e32 v36, 16, v36                             // 00000000310C: 24484890
	v_lshlrev_b32_e32 v38, 16, v38                             // 000000003110: 244C4C90
	v_lshlrev_b32_e32 v37, 16, v37                             // 000000003114: 244A4A90
	v_lshlrev_b32_e32 v39, 16, v39                             // 000000003118: 244E4E90
	v_fma_f32 v40, v36, v38, v40                               // 00000000311C: D1CB0028 04A24D24
	v_fma_f32 v40, v37, v39, v40                               // 000000003124: D1CB0028 04A24F25
	v_and_b32_e32 v36, 0xffff, v11                             // 00000000312C: 264816FF 0000FFFF
	v_lshrrev_b32_e32 v37, 16, v11                             // 000000003134: 204A1690
	v_and_b32_e32 v38, 0xffff, v23                             // 000000003138: 264C2EFF 0000FFFF
	v_lshrrev_b32_e32 v39, 16, v23                             // 000000003140: 204E2E90
	v_lshlrev_b32_e32 v36, 16, v36                             // 000000003144: 24484890
	v_lshlrev_b32_e32 v38, 16, v38                             // 000000003148: 244C4C90
	v_lshlrev_b32_e32 v37, 16, v37                             // 00000000314C: 244A4A90
	v_lshlrev_b32_e32 v39, 16, v39                             // 000000003150: 244E4E90
	v_fma_f32 v40, v36, v38, v40                               // 000000003154: D1CB0028 04A24D24
	v_fma_f32 v40, v37, v39, v40                               // 00000000315C: D1CB0028 04A24F25
	v_and_b32_e32 v36, 0xffff, v12                             // 000000003164: 264818FF 0000FFFF
	v_lshrrev_b32_e32 v37, 16, v12                             // 00000000316C: 204A1890
	v_and_b32_e32 v38, 0xffff, v24                             // 000000003170: 264C30FF 0000FFFF
	v_lshrrev_b32_e32 v39, 16, v24                             // 000000003178: 204E3090
	v_lshlrev_b32_e32 v36, 16, v36                             // 00000000317C: 24484890
	v_lshlrev_b32_e32 v38, 16, v38                             // 000000003180: 244C4C90
	v_lshlrev_b32_e32 v37, 16, v37                             // 000000003184: 244A4A90
	v_lshlrev_b32_e32 v39, 16, v39                             // 000000003188: 244E4E90
	v_fma_f32 v40, v36, v38, v40                               // 00000000318C: D1CB0028 04A24D24
	v_fma_f32 v40, v37, v39, v40                               // 000000003194: D1CB0028 04A24F25
	v_and_b32_e32 v36, 0xffff, v13                             // 00000000319C: 26481AFF 0000FFFF
	v_lshrrev_b32_e32 v37, 16, v13                             // 0000000031A4: 204A1A90
	v_and_b32_e32 v38, 0xffff, v25                             // 0000000031A8: 264C32FF 0000FFFF
	v_lshrrev_b32_e32 v39, 16, v25                             // 0000000031B0: 204E3290
	v_lshlrev_b32_e32 v36, 16, v36                             // 0000000031B4: 24484890
	v_lshlrev_b32_e32 v38, 16, v38                             // 0000000031B8: 244C4C90
	v_lshlrev_b32_e32 v37, 16, v37                             // 0000000031BC: 244A4A90
	v_lshlrev_b32_e32 v39, 16, v39                             // 0000000031C0: 244E4E90
	v_fma_f32 v40, v36, v38, v40                               // 0000000031C4: D1CB0028 04A24D24
	v_fma_f32 v40, v37, v39, v40                               // 0000000031CC: D1CB0028 04A24F25
	ds_write_b32 v32, v40                                      // 0000000031D4: D81A0000 00002820
	s_waitcnt lgkmcnt(0)                                       // 0000000031DC: BF8CC07F
	s_mov_b64 exec, s[48:49]                                   // 0000000031E0: BEFE0130
	ds_read_b128 v[36:39], v34                                 // 0000000031E4: D9FE0000 24000022
	s_waitcnt lgkmcnt(0)                                       // 0000000031EC: BF8CC07F
	ds_read_b128 v[40:43], v35                                 // 0000000031F0: D9FE0000 28000023
	s_waitcnt lgkmcnt(0)                                       // 0000000031F8: BF8CC07F
	v_add_f32_e32 v30, v36, v30                                // 0000000031FC: 023C3D24
	v_add_f32_e32 v30, v37, v30                                // 000000003200: 023C3D25
	v_add_f32_e32 v30, v38, v30                                // 000000003204: 023C3D26
	v_add_f32_e32 v30, v39, v30                                // 000000003208: 023C3D27
	v_add_f32_e32 v30, v40, v30                                // 00000000320C: 023C3D28
	v_add_f32_e32 v30, v41, v30                                // 000000003210: 023C3D29
	v_add_f32_e32 v30, v42, v30                                // 000000003214: 023C3D2A
	v_add_f32_e32 v30, v43, v30                                // 000000003218: 023C3D2B
	s_mov_b64 exec, -1                                         // 00000000321C: BEFE01C1
	s_waitcnt vmcnt(0) expcnt(0) lgkmcnt(0)                    // 000000003220: BF8C0000
	s_barrier                                                  // 000000003224: BF8A0000
	v_mov_b32_e32 v40, 0                                       // 000000003228: 7E500280
	v_and_b32_e32 v36, 0xffff, v14                             // 00000000322C: 26481CFF 0000FFFF
	v_lshrrev_b32_e32 v37, 16, v14                             // 000000003234: 204A1C90
	v_and_b32_e32 v38, 0xffff, v26                             // 000000003238: 264C34FF 0000FFFF
	v_lshrrev_b32_e32 v39, 16, v26                             // 000000003240: 204E3490
	v_lshlrev_b32_e32 v36, 16, v36                             // 000000003244: 24484890
	v_lshlrev_b32_e32 v38, 16, v38                             // 000000003248: 244C4C90
	v_lshlrev_b32_e32 v37, 16, v37                             // 00000000324C: 244A4A90
	v_lshlrev_b32_e32 v39, 16, v39                             // 000000003250: 244E4E90
	v_fma_f32 v40, v36, v38, v40                               // 000000003254: D1CB0028 04A24D24
	v_fma_f32 v40, v37, v39, v40                               // 00000000325C: D1CB0028 04A24F25
	v_and_b32_e32 v36, 0xffff, v15                             // 000000003264: 26481EFF 0000FFFF
	v_lshrrev_b32_e32 v37, 16, v15                             // 00000000326C: 204A1E90
	v_and_b32_e32 v38, 0xffff, v27                             // 000000003270: 264C36FF 0000FFFF
	v_lshrrev_b32_e32 v39, 16, v27                             // 000000003278: 204E3690
	v_lshlrev_b32_e32 v36, 16, v36                             // 00000000327C: 24484890
	v_lshlrev_b32_e32 v38, 16, v38                             // 000000003280: 244C4C90
	v_lshlrev_b32_e32 v37, 16, v37                             // 000000003284: 244A4A90
	v_lshlrev_b32_e32 v39, 16, v39                             // 000000003288: 244E4E90
	v_fma_f32 v40, v36, v38, v40                               // 00000000328C: D1CB0028 04A24D24
	v_fma_f32 v40, v37, v39, v40                               // 000000003294: D1CB0028 04A24F25
	v_and_b32_e32 v36, 0xffff, v16                             // 00000000329C: 264820FF 0000FFFF
	v_lshrrev_b32_e32 v37, 16, v16                             // 0000000032A4: 204A2090
	v_and_b32_e32 v38, 0xffff, v28                             // 0000000032A8: 264C38FF 0000FFFF
	v_lshrrev_b32_e32 v39, 16, v28                             // 0000000032B0: 204E3890
	v_lshlrev_b32_e32 v36, 16, v36                             // 0000000032B4: 24484890
	v_lshlrev_b32_e32 v38, 16, v38                             // 0000000032B8: 244C4C90
	v_lshlrev_b32_e32 v37, 16, v37                             // 0000000032BC: 244A4A90
	v_lshlrev_b32_e32 v39, 16, v39                             // 0000000032C0: 244E4E90
	v_fma_f32 v40, v36, v38, v40                               // 0000000032C4: D1CB0028 04A24D24
	v_fma_f32 v40, v37, v39, v40                               // 0000000032CC: D1CB0028 04A24F25
	v_and_b32_e32 v36, 0xffff, v17                             // 0000000032D4: 264822FF 0000FFFF
	v_lshrrev_b32_e32 v37, 16, v17                             // 0000000032DC: 204A2290
	v_and_b32_e32 v38, 0xffff, v29                             // 0000000032E0: 264C3AFF 0000FFFF
	v_lshrrev_b32_e32 v39, 16, v29                             // 0000000032E8: 204E3A90
	v_lshlrev_b32_e32 v36, 16, v36                             // 0000000032EC: 24484890
	v_lshlrev_b32_e32 v38, 16, v38                             // 0000000032F0: 244C4C90
	v_lshlrev_b32_e32 v37, 16, v37                             // 0000000032F4: 244A4A90
	v_lshlrev_b32_e32 v39, 16, v39                             // 0000000032F8: 244E4E90
	v_fma_f32 v40, v36, v38, v40                               // 0000000032FC: D1CB0028 04A24D24
	v_fma_f32 v40, v37, v39, v40                               // 000000003304: D1CB0028 04A24F25
	ds_write_b32 v32, v40                                      // 00000000330C: D81A0000 00002820
	s_waitcnt lgkmcnt(0)                                       // 000000003314: BF8CC07F
	s_mov_b64 exec, s[48:49]                                   // 000000003318: BEFE0130
	ds_read_b128 v[36:39], v34                                 // 00000000331C: D9FE0000 24000022
	s_waitcnt lgkmcnt(0)                                       // 000000003324: BF8CC07F
	ds_read_b128 v[40:43], v35                                 // 000000003328: D9FE0000 28000023
	s_waitcnt lgkmcnt(0)                                       // 000000003330: BF8CC07F
	v_add_f32_e32 v30, v36, v30                                // 000000003334: 023C3D24
	v_add_f32_e32 v30, v37, v30                                // 000000003338: 023C3D25
	v_add_f32_e32 v30, v38, v30                                // 00000000333C: 023C3D26
	v_add_f32_e32 v30, v39, v30                                // 000000003340: 023C3D27
	v_add_f32_e32 v30, v40, v30                                // 000000003344: 023C3D28
	v_add_f32_e32 v30, v41, v30                                // 000000003348: 023C3D29
	v_add_f32_e32 v30, v42, v30                                // 00000000334C: 023C3D2A
	v_add_f32_e32 v30, v43, v30                                // 000000003350: 023C3D2B
	s_mov_b64 exec, -1                                         // 000000003354: BEFE01C1
	s_mul_i32 s31, s8, 3                                       // 000000003358: 921F8308
	s_lshl_b32 s31, s31, 3                                     // 00000000335C: 8E1F831F
	v_add_u32_e32 v31, s31, v4                                 // 000000003360: 683E081F
	s_mul_i32 s31, s52, 3                                      // 000000003364: 921F8334
	s_lshl_b32 s31, s31, 3                                     // 000000003368: 8E1F831F
	v_add_u32_e32 v46, s31, v45                                // 00000000336C: 685C5A1F
	v_and_b32_e32 v44, 7, v0                                   // 000000003370: 26580087
	v_cmp_eq_u32_e64 s[48:49], v44, 6                          // 000000003374: D0CA0030 00010D2C
	buffer_load_dwordx4 v[18:21], v46, s[20:23], 0 offen       // 00000000337C: E05C1000 8005122E
	buffer_load_dwordx4 v[6:9], v31, s[12:15], 0 offen         // 000000003384: E05C1000 8003061F
	v_add_u32_e32 v31, 0x80, v31                               // 00000000338C: 683E3EFF 00000080
	v_add_u32_e32 v46, 0x80, v46                               // 000000003394: 685C5CFF 00000080
	s_waitcnt vmcnt(0) expcnt(0) lgkmcnt(0)                    // 00000000339C: BF8C0000
	s_barrier                                                  // 0000000033A0: BF8A0000
	buffer_load_dwordx4 v[22:25], v46, s[20:23], 0 offen       // 0000000033A4: E05C1000 8005162E
	buffer_load_dwordx4 v[10:13], v31, s[12:15], 0 offen       // 0000000033AC: E05C1000 80030A1F
	v_add_u32_e32 v31, 0x80, v31                               // 0000000033B4: 683E3EFF 00000080
	v_add_u32_e32 v46, 0x80, v46                               // 0000000033BC: 685C5CFF 00000080
	v_mov_b32_e32 v40, 0                                       // 0000000033C4: 7E500280
	v_and_b32_e32 v36, 0xffff, v6                              // 0000000033C8: 26480CFF 0000FFFF
	v_lshrrev_b32_e32 v37, 16, v6                              // 0000000033D0: 204A0C90
	v_and_b32_e32 v38, 0xffff, v18                             // 0000000033D4: 264C24FF 0000FFFF
	v_lshrrev_b32_e32 v39, 16, v18                             // 0000000033DC: 204E2490
	v_lshlrev_b32_e32 v36, 16, v36                             // 0000000033E0: 24484890
	v_lshlrev_b32_e32 v38, 16, v38                             // 0000000033E4: 244C4C90
	v_lshlrev_b32_e32 v37, 16, v37                             // 0000000033E8: 244A4A90
	v_lshlrev_b32_e32 v39, 16, v39                             // 0000000033EC: 244E4E90
	v_fma_f32 v40, v36, v38, v40                               // 0000000033F0: D1CB0028 04A24D24
	v_fma_f32 v40, v37, v39, v40                               // 0000000033F8: D1CB0028 04A24F25
	v_and_b32_e32 v36, 0xffff, v7                              // 000000003400: 26480EFF 0000FFFF
	v_lshrrev_b32_e32 v37, 16, v7                              // 000000003408: 204A0E90
	v_and_b32_e32 v38, 0xffff, v19                             // 00000000340C: 264C26FF 0000FFFF
	v_lshrrev_b32_e32 v39, 16, v19                             // 000000003414: 204E2690
	v_lshlrev_b32_e32 v36, 16, v36                             // 000000003418: 24484890
	v_lshlrev_b32_e32 v38, 16, v38                             // 00000000341C: 244C4C90
	v_lshlrev_b32_e32 v37, 16, v37                             // 000000003420: 244A4A90
	v_lshlrev_b32_e32 v39, 16, v39                             // 000000003424: 244E4E90
	v_fma_f32 v40, v36, v38, v40                               // 000000003428: D1CB0028 04A24D24
	v_fma_f32 v40, v37, v39, v40                               // 000000003430: D1CB0028 04A24F25
	v_and_b32_e32 v36, 0xffff, v8                              // 000000003438: 264810FF 0000FFFF
	v_lshrrev_b32_e32 v37, 16, v8                              // 000000003440: 204A1090
	v_and_b32_e32 v38, 0xffff, v20                             // 000000003444: 264C28FF 0000FFFF
	v_lshrrev_b32_e32 v39, 16, v20                             // 00000000344C: 204E2890
	v_lshlrev_b32_e32 v36, 16, v36                             // 000000003450: 24484890
	v_lshlrev_b32_e32 v38, 16, v38                             // 000000003454: 244C4C90
	v_lshlrev_b32_e32 v37, 16, v37                             // 000000003458: 244A4A90
	v_lshlrev_b32_e32 v39, 16, v39                             // 00000000345C: 244E4E90
	v_fma_f32 v40, v36, v38, v40                               // 000000003460: D1CB0028 04A24D24
	v_fma_f32 v40, v37, v39, v40                               // 000000003468: D1CB0028 04A24F25
	v_and_b32_e32 v36, 0xffff, v9                              // 000000003470: 264812FF 0000FFFF
	v_lshrrev_b32_e32 v37, 16, v9                              // 000000003478: 204A1290
	v_and_b32_e32 v38, 0xffff, v21                             // 00000000347C: 264C2AFF 0000FFFF
	v_lshrrev_b32_e32 v39, 16, v21                             // 000000003484: 204E2A90
	v_lshlrev_b32_e32 v36, 16, v36                             // 000000003488: 24484890
	v_lshlrev_b32_e32 v38, 16, v38                             // 00000000348C: 244C4C90
	v_lshlrev_b32_e32 v37, 16, v37                             // 000000003490: 244A4A90
	v_lshlrev_b32_e32 v39, 16, v39                             // 000000003494: 244E4E90
	v_fma_f32 v40, v36, v38, v40                               // 000000003498: D1CB0028 04A24D24
	v_fma_f32 v40, v37, v39, v40                               // 0000000034A0: D1CB0028 04A24F25
	ds_write_b32 v32, v40                                      // 0000000034A8: D81A0000 00002820
	s_waitcnt lgkmcnt(0)                                       // 0000000034B0: BF8CC07F
	s_mov_b64 exec, s[48:49]                                   // 0000000034B4: BEFE0130
	ds_read_b128 v[36:39], v34                                 // 0000000034B8: D9FE0000 24000022
	s_waitcnt lgkmcnt(0)                                       // 0000000034C0: BF8CC07F
	ds_read_b128 v[40:43], v35                                 // 0000000034C4: D9FE0000 28000023
	s_waitcnt lgkmcnt(0)                                       // 0000000034CC: BF8CC07F
	v_add_f32_e32 v30, v36, v30                                // 0000000034D0: 023C3D24
	v_add_f32_e32 v30, v37, v30                                // 0000000034D4: 023C3D25
	v_add_f32_e32 v30, v38, v30                                // 0000000034D8: 023C3D26
	v_add_f32_e32 v30, v39, v30                                // 0000000034DC: 023C3D27
	v_add_f32_e32 v30, v40, v30                                // 0000000034E0: 023C3D28
	v_add_f32_e32 v30, v41, v30                                // 0000000034E4: 023C3D29
	v_add_f32_e32 v30, v42, v30                                // 0000000034E8: 023C3D2A
	v_add_f32_e32 v30, v43, v30                                // 0000000034EC: 023C3D2B
	s_mov_b64 exec, -1                                         // 0000000034F0: BEFE01C1
	s_waitcnt vmcnt(0) expcnt(0) lgkmcnt(0)                    // 0000000034F4: BF8C0000
	s_barrier                                                  // 0000000034F8: BF8A0000
	v_mov_b32_e32 v26, 0                                       // 0000000034FC: 7E340280
	v_mov_b32_e32 v14, 0                                       // 000000003500: 7E1C0280
	v_mov_b32_e32 v27, 0                                       // 000000003504: 7E360280
	v_mov_b32_e32 v15, 0                                       // 000000003508: 7E1E0280
	v_mov_b32_e32 v28, 0                                       // 00000000350C: 7E380280
	v_mov_b32_e32 v16, 0                                       // 000000003510: 7E200280
	v_mov_b32_e32 v29, 0                                       // 000000003514: 7E3A0280
	v_mov_b32_e32 v17, 0                                       // 000000003518: 7E220280
	s_mov_b64 exec, s[36:37]                                   // 00000000351C: BEFE0124
	buffer_load_dwordx4 v[26:29], v46, s[20:23], 0 offen       // 000000003520: E05C1000 80051A2E
	buffer_load_dwordx4 v[14:17], v31, s[12:15], 0 offen       // 000000003528: E05C1000 80030E1F
	s_mov_b64 exec, -1                                         // 000000003530: BEFE01C1
	v_add_u32_e32 v31, 0x80, v31                               // 000000003534: 683E3EFF 00000080
	v_add_u32_e32 v46, 0x80, v46                               // 00000000353C: 685C5CFF 00000080
	v_mov_b32_e32 v40, 0                                       // 000000003544: 7E500280
	v_and_b32_e32 v36, 0xffff, v10                             // 000000003548: 264814FF 0000FFFF
	v_lshrrev_b32_e32 v37, 16, v10                             // 000000003550: 204A1490
	v_and_b32_e32 v38, 0xffff, v22                             // 000000003554: 264C2CFF 0000FFFF
	v_lshrrev_b32_e32 v39, 16, v22                             // 00000000355C: 204E2C90
	v_lshlrev_b32_e32 v36, 16, v36                             // 000000003560: 24484890
	v_lshlrev_b32_e32 v38, 16, v38                             // 000000003564: 244C4C90
	v_lshlrev_b32_e32 v37, 16, v37                             // 000000003568: 244A4A90
	v_lshlrev_b32_e32 v39, 16, v39                             // 00000000356C: 244E4E90
	v_fma_f32 v40, v36, v38, v40                               // 000000003570: D1CB0028 04A24D24
	v_fma_f32 v40, v37, v39, v40                               // 000000003578: D1CB0028 04A24F25
	v_and_b32_e32 v36, 0xffff, v11                             // 000000003580: 264816FF 0000FFFF
	v_lshrrev_b32_e32 v37, 16, v11                             // 000000003588: 204A1690
	v_and_b32_e32 v38, 0xffff, v23                             // 00000000358C: 264C2EFF 0000FFFF
	v_lshrrev_b32_e32 v39, 16, v23                             // 000000003594: 204E2E90
	v_lshlrev_b32_e32 v36, 16, v36                             // 000000003598: 24484890
	v_lshlrev_b32_e32 v38, 16, v38                             // 00000000359C: 244C4C90
	v_lshlrev_b32_e32 v37, 16, v37                             // 0000000035A0: 244A4A90
	v_lshlrev_b32_e32 v39, 16, v39                             // 0000000035A4: 244E4E90
	v_fma_f32 v40, v36, v38, v40                               // 0000000035A8: D1CB0028 04A24D24
	v_fma_f32 v40, v37, v39, v40                               // 0000000035B0: D1CB0028 04A24F25
	v_and_b32_e32 v36, 0xffff, v12                             // 0000000035B8: 264818FF 0000FFFF
	v_lshrrev_b32_e32 v37, 16, v12                             // 0000000035C0: 204A1890
	v_and_b32_e32 v38, 0xffff, v24                             // 0000000035C4: 264C30FF 0000FFFF
	v_lshrrev_b32_e32 v39, 16, v24                             // 0000000035CC: 204E3090
	v_lshlrev_b32_e32 v36, 16, v36                             // 0000000035D0: 24484890
	v_lshlrev_b32_e32 v38, 16, v38                             // 0000000035D4: 244C4C90
	v_lshlrev_b32_e32 v37, 16, v37                             // 0000000035D8: 244A4A90
	v_lshlrev_b32_e32 v39, 16, v39                             // 0000000035DC: 244E4E90
	v_fma_f32 v40, v36, v38, v40                               // 0000000035E0: D1CB0028 04A24D24
	v_fma_f32 v40, v37, v39, v40                               // 0000000035E8: D1CB0028 04A24F25
	v_and_b32_e32 v36, 0xffff, v13                             // 0000000035F0: 26481AFF 0000FFFF
	v_lshrrev_b32_e32 v37, 16, v13                             // 0000000035F8: 204A1A90
	v_and_b32_e32 v38, 0xffff, v25                             // 0000000035FC: 264C32FF 0000FFFF
	v_lshrrev_b32_e32 v39, 16, v25                             // 000000003604: 204E3290
	v_lshlrev_b32_e32 v36, 16, v36                             // 000000003608: 24484890
	v_lshlrev_b32_e32 v38, 16, v38                             // 00000000360C: 244C4C90
	v_lshlrev_b32_e32 v37, 16, v37                             // 000000003610: 244A4A90
	v_lshlrev_b32_e32 v39, 16, v39                             // 000000003614: 244E4E90
	v_fma_f32 v40, v36, v38, v40                               // 000000003618: D1CB0028 04A24D24
	v_fma_f32 v40, v37, v39, v40                               // 000000003620: D1CB0028 04A24F25
	ds_write_b32 v32, v40                                      // 000000003628: D81A0000 00002820
	s_waitcnt lgkmcnt(0)                                       // 000000003630: BF8CC07F
	s_mov_b64 exec, s[48:49]                                   // 000000003634: BEFE0130
	ds_read_b128 v[36:39], v34                                 // 000000003638: D9FE0000 24000022
	s_waitcnt lgkmcnt(0)                                       // 000000003640: BF8CC07F
	ds_read_b128 v[40:43], v35                                 // 000000003644: D9FE0000 28000023
	s_waitcnt lgkmcnt(0)                                       // 00000000364C: BF8CC07F
	v_add_f32_e32 v30, v36, v30                                // 000000003650: 023C3D24
	v_add_f32_e32 v30, v37, v30                                // 000000003654: 023C3D25
	v_add_f32_e32 v30, v38, v30                                // 000000003658: 023C3D26
	v_add_f32_e32 v30, v39, v30                                // 00000000365C: 023C3D27
	v_add_f32_e32 v30, v40, v30                                // 000000003660: 023C3D28
	v_add_f32_e32 v30, v41, v30                                // 000000003664: 023C3D29
	v_add_f32_e32 v30, v42, v30                                // 000000003668: 023C3D2A
	v_add_f32_e32 v30, v43, v30                                // 00000000366C: 023C3D2B
	s_mov_b64 exec, -1                                         // 000000003670: BEFE01C1
	s_waitcnt vmcnt(0) expcnt(0) lgkmcnt(0)                    // 000000003674: BF8C0000
	s_barrier                                                  // 000000003678: BF8A0000
	v_mov_b32_e32 v40, 0                                       // 00000000367C: 7E500280
	v_and_b32_e32 v36, 0xffff, v14                             // 000000003680: 26481CFF 0000FFFF
	v_lshrrev_b32_e32 v37, 16, v14                             // 000000003688: 204A1C90
	v_and_b32_e32 v38, 0xffff, v26                             // 00000000368C: 264C34FF 0000FFFF
	v_lshrrev_b32_e32 v39, 16, v26                             // 000000003694: 204E3490
	v_lshlrev_b32_e32 v36, 16, v36                             // 000000003698: 24484890
	v_lshlrev_b32_e32 v38, 16, v38                             // 00000000369C: 244C4C90
	v_lshlrev_b32_e32 v37, 16, v37                             // 0000000036A0: 244A4A90
	v_lshlrev_b32_e32 v39, 16, v39                             // 0000000036A4: 244E4E90
	v_fma_f32 v40, v36, v38, v40                               // 0000000036A8: D1CB0028 04A24D24
	v_fma_f32 v40, v37, v39, v40                               // 0000000036B0: D1CB0028 04A24F25
	v_and_b32_e32 v36, 0xffff, v15                             // 0000000036B8: 26481EFF 0000FFFF
	v_lshrrev_b32_e32 v37, 16, v15                             // 0000000036C0: 204A1E90
	v_and_b32_e32 v38, 0xffff, v27                             // 0000000036C4: 264C36FF 0000FFFF
	v_lshrrev_b32_e32 v39, 16, v27                             // 0000000036CC: 204E3690
	v_lshlrev_b32_e32 v36, 16, v36                             // 0000000036D0: 24484890
	v_lshlrev_b32_e32 v38, 16, v38                             // 0000000036D4: 244C4C90
	v_lshlrev_b32_e32 v37, 16, v37                             // 0000000036D8: 244A4A90
	v_lshlrev_b32_e32 v39, 16, v39                             // 0000000036DC: 244E4E90
	v_fma_f32 v40, v36, v38, v40                               // 0000000036E0: D1CB0028 04A24D24
	v_fma_f32 v40, v37, v39, v40                               // 0000000036E8: D1CB0028 04A24F25
	v_and_b32_e32 v36, 0xffff, v16                             // 0000000036F0: 264820FF 0000FFFF
	v_lshrrev_b32_e32 v37, 16, v16                             // 0000000036F8: 204A2090
	v_and_b32_e32 v38, 0xffff, v28                             // 0000000036FC: 264C38FF 0000FFFF
	v_lshrrev_b32_e32 v39, 16, v28                             // 000000003704: 204E3890
	v_lshlrev_b32_e32 v36, 16, v36                             // 000000003708: 24484890
	v_lshlrev_b32_e32 v38, 16, v38                             // 00000000370C: 244C4C90
	v_lshlrev_b32_e32 v37, 16, v37                             // 000000003710: 244A4A90
	v_lshlrev_b32_e32 v39, 16, v39                             // 000000003714: 244E4E90
	v_fma_f32 v40, v36, v38, v40                               // 000000003718: D1CB0028 04A24D24
	v_fma_f32 v40, v37, v39, v40                               // 000000003720: D1CB0028 04A24F25
	v_and_b32_e32 v36, 0xffff, v17                             // 000000003728: 264822FF 0000FFFF
	v_lshrrev_b32_e32 v37, 16, v17                             // 000000003730: 204A2290
	v_and_b32_e32 v38, 0xffff, v29                             // 000000003734: 264C3AFF 0000FFFF
	v_lshrrev_b32_e32 v39, 16, v29                             // 00000000373C: 204E3A90
	v_lshlrev_b32_e32 v36, 16, v36                             // 000000003740: 24484890
	v_lshlrev_b32_e32 v38, 16, v38                             // 000000003744: 244C4C90
	v_lshlrev_b32_e32 v37, 16, v37                             // 000000003748: 244A4A90
	v_lshlrev_b32_e32 v39, 16, v39                             // 00000000374C: 244E4E90
	v_fma_f32 v40, v36, v38, v40                               // 000000003750: D1CB0028 04A24D24
	v_fma_f32 v40, v37, v39, v40                               // 000000003758: D1CB0028 04A24F25
	ds_write_b32 v32, v40                                      // 000000003760: D81A0000 00002820
	s_waitcnt lgkmcnt(0)                                       // 000000003768: BF8CC07F
	s_mov_b64 exec, s[48:49]                                   // 00000000376C: BEFE0130
	ds_read_b128 v[36:39], v34                                 // 000000003770: D9FE0000 24000022
	s_waitcnt lgkmcnt(0)                                       // 000000003778: BF8CC07F
	ds_read_b128 v[40:43], v35                                 // 00000000377C: D9FE0000 28000023
	s_waitcnt lgkmcnt(0)                                       // 000000003784: BF8CC07F
	v_add_f32_e32 v30, v36, v30                                // 000000003788: 023C3D24
	v_add_f32_e32 v30, v37, v30                                // 00000000378C: 023C3D25
	v_add_f32_e32 v30, v38, v30                                // 000000003790: 023C3D26
	v_add_f32_e32 v30, v39, v30                                // 000000003794: 023C3D27
	v_add_f32_e32 v30, v40, v30                                // 000000003798: 023C3D28
	v_add_f32_e32 v30, v41, v30                                // 00000000379C: 023C3D29
	v_add_f32_e32 v30, v42, v30                                // 0000000037A0: 023C3D2A
	v_add_f32_e32 v30, v43, v30                                // 0000000037A4: 023C3D2B
	s_mov_b64 exec, -1                                         // 0000000037A8: BEFE01C1
	s_mov_b64 exec, s[38:39]                                   // 0000000037AC: BEFE0126
	buffer_store_dword v30, v5, s[16:19], 0 offen              // 0000000037B0: E0701000 80041E05
	s_waitcnt vmcnt(0) expcnt(0) lgkmcnt(0)                    // 0000000037B8: BF8C0000
	s_endpgm                                                   // 0000000037BC: BF810000
